;; amdgpu-corpus repo=ROCm/rocFFT kind=compiled arch=gfx1030 opt=O3
	.text
	.amdgcn_target "amdgcn-amd-amdhsa--gfx1030"
	.amdhsa_code_object_version 6
	.protected	fft_rtc_fwd_len208_factors_13_16_wgs_144_tpt_16_half_ip_CI_sbcc_dirReg ; -- Begin function fft_rtc_fwd_len208_factors_13_16_wgs_144_tpt_16_half_ip_CI_sbcc_dirReg
	.globl	fft_rtc_fwd_len208_factors_13_16_wgs_144_tpt_16_half_ip_CI_sbcc_dirReg
	.p2align	8
	.type	fft_rtc_fwd_len208_factors_13_16_wgs_144_tpt_16_half_ip_CI_sbcc_dirReg,@function
fft_rtc_fwd_len208_factors_13_16_wgs_144_tpt_16_half_ip_CI_sbcc_dirReg: ; @fft_rtc_fwd_len208_factors_13_16_wgs_144_tpt_16_half_ip_CI_sbcc_dirReg
; %bb.0:
	s_load_dwordx4 s[0:3], s[4:5], 0x18
	s_mov_b64 s[20:21], 0
	s_waitcnt lgkmcnt(0)
	s_load_dwordx2 s[14:15], s[0:1], 0x8
	s_waitcnt lgkmcnt(0)
	s_add_u32 s7, s14, -1
	s_addc_u32 s8, s15, -1
	s_add_u32 s9, 0, 0x71c4fc00
	s_addc_u32 s10, 0, 0x7c
	s_mul_hi_u32 s12, s9, -9
	s_add_i32 s10, s10, 0x1c71c6a0
	s_sub_i32 s12, s12, s9
	s_mul_i32 s16, s10, -9
	s_mul_i32 s11, s9, -9
	s_add_i32 s12, s12, s16
	s_mul_hi_u32 s13, s9, s11
	s_mul_i32 s18, s9, s12
	s_mul_hi_u32 s16, s9, s12
	s_mul_hi_u32 s17, s10, s11
	s_mul_i32 s11, s10, s11
	s_add_u32 s13, s13, s18
	s_addc_u32 s16, 0, s16
	s_mul_hi_u32 s19, s10, s12
	s_add_u32 s11, s13, s11
	s_mul_i32 s12, s10, s12
	s_addc_u32 s11, s16, s17
	s_addc_u32 s13, s19, 0
	s_add_u32 s11, s11, s12
	v_add_co_u32 v1, s9, s9, s11
	s_addc_u32 s11, 0, s13
	s_cmp_lg_u32 s9, 0
	s_addc_u32 s9, s10, s11
	v_readfirstlane_b32 s10, v1
	s_mul_i32 s12, s7, s9
	s_mul_hi_u32 s11, s7, s9
	s_mul_hi_u32 s13, s8, s9
	s_mul_i32 s9, s8, s9
	s_mul_hi_u32 s16, s7, s10
	s_mul_hi_u32 s17, s8, s10
	s_mul_i32 s10, s8, s10
	s_add_u32 s12, s16, s12
	s_addc_u32 s11, 0, s11
	s_add_u32 s10, s12, s10
	s_addc_u32 s10, s11, s17
	s_addc_u32 s11, s13, 0
	s_add_u32 s9, s10, s9
	s_addc_u32 s10, 0, s11
	s_mul_i32 s12, s9, 9
	s_add_u32 s11, s9, 1
	v_sub_co_u32 v1, s7, s7, s12
	s_mul_hi_u32 s12, s9, 9
	s_addc_u32 s13, s10, 0
	s_mul_i32 s16, s10, 9
	v_sub_co_u32 v2, s17, v1, 9
	s_add_u32 s18, s9, 2
	s_addc_u32 s19, s10, 0
	s_add_i32 s12, s12, s16
	s_cmp_lg_u32 s7, 0
	v_readfirstlane_b32 s7, v2
	s_subb_u32 s8, s8, s12
	s_cmp_lg_u32 s17, 0
	s_subb_u32 s12, s8, 0
	s_cmp_gt_u32 s7, 8
	s_cselect_b32 s7, -1, 0
	s_cmp_eq_u32 s12, 0
	v_readfirstlane_b32 s12, v1
	s_cselect_b32 s7, s7, -1
	s_cmp_lg_u32 s7, 0
	s_cselect_b32 s11, s18, s11
	s_cselect_b32 s13, s19, s13
	s_cmp_gt_u32 s12, 8
	s_cselect_b32 s7, -1, 0
	s_cmp_eq_u32 s8, 0
	s_cselect_b32 s7, s7, -1
	s_cmp_lg_u32 s7, 0
	s_mov_b32 s7, 0
	s_cselect_b32 s8, s11, s9
	s_cselect_b32 s9, s13, s10
	s_add_u32 s16, s8, 1
	s_addc_u32 s17, s9, 0
	v_cmp_lt_u64_e64 s8, s[6:7], s[16:17]
	s_and_b32 vcc_lo, exec_lo, s8
	s_cbranch_vccnz .LBB0_2
; %bb.1:
	v_cvt_f32_u32_e32 v1, s16
	s_sub_i32 s9, 0, s16
	s_mov_b32 s21, s7
	v_rcp_iflag_f32_e32 v1, v1
	v_mul_f32_e32 v1, 0x4f7ffffe, v1
	v_cvt_u32_f32_e32 v1, v1
	v_readfirstlane_b32 s8, v1
	s_mul_i32 s9, s9, s8
	s_mul_hi_u32 s9, s8, s9
	s_add_i32 s8, s8, s9
	s_mul_hi_u32 s8, s6, s8
	s_mul_i32 s9, s8, s16
	s_add_i32 s10, s8, 1
	s_sub_i32 s9, s6, s9
	s_sub_i32 s11, s9, s16
	s_cmp_ge_u32 s9, s16
	s_cselect_b32 s8, s10, s8
	s_cselect_b32 s9, s11, s9
	s_add_i32 s10, s8, 1
	s_cmp_ge_u32 s9, s16
	s_cselect_b32 s20, s10, s8
.LBB0_2:
	s_load_dwordx4 s[8:11], s[2:3], 0x0
	s_clause 0x2
	s_load_dwordx2 s[18:19], s[4:5], 0x10
	s_load_dwordx2 s[12:13], s[4:5], 0x58
	;; [unrolled: 1-line block ×3, first 2 shown]
	s_mul_i32 s22, s20, s17
	s_mul_hi_u32 s23, s20, s16
	s_mul_i32 s24, s20, s16
	s_add_i32 s23, s23, s22
	s_sub_u32 s34, s6, s24
	s_subb_u32 s22, 0, s23
	s_mul_hi_u32 s33, s34, 9
	s_mul_i32 s22, s22, 9
	s_mul_i32 s34, s34, 9
	s_add_i32 s33, s33, s22
	s_waitcnt lgkmcnt(0)
	s_mul_i32 s22, s10, s33
	v_cmp_lt_u64_e64 s24, s[18:19], 3
	s_mul_hi_u32 s23, s10, s34
	s_mul_i32 s36, s10, s34
	s_add_i32 s22, s23, s22
	s_mul_i32 s23, s11, s34
	s_add_i32 s35, s22, s23
	s_and_b32 vcc_lo, exec_lo, s24
	s_cbranch_vccnz .LBB0_12
; %bb.3:
	s_add_u32 s22, s2, 16
	s_addc_u32 s23, s3, 0
	s_add_u32 s0, s0, 16
	s_addc_u32 s1, s1, 0
	s_mov_b64 s[24:25], 2
	s_mov_b32 s26, 0
.LBB0_4:                                ; =>This Inner Loop Header: Depth=1
	s_load_dwordx2 s[28:29], s[0:1], 0x0
	s_waitcnt lgkmcnt(0)
	s_or_b64 s[30:31], s[20:21], s[28:29]
	s_mov_b32 s27, s31
                                        ; implicit-def: $sgpr30_sgpr31
	s_cmp_lg_u64 s[26:27], 0
	s_mov_b32 s27, -1
	s_cbranch_scc0 .LBB0_6
; %bb.5:                                ;   in Loop: Header=BB0_4 Depth=1
	v_cvt_f32_u32_e32 v1, s28
	v_cvt_f32_u32_e32 v2, s29
	s_sub_u32 s31, 0, s28
	s_subb_u32 s37, 0, s29
	v_fmac_f32_e32 v1, 0x4f800000, v2
	v_rcp_f32_e32 v1, v1
	v_mul_f32_e32 v1, 0x5f7ffffc, v1
	v_mul_f32_e32 v2, 0x2f800000, v1
	v_trunc_f32_e32 v2, v2
	v_fmac_f32_e32 v1, 0xcf800000, v2
	v_cvt_u32_f32_e32 v2, v2
	v_cvt_u32_f32_e32 v1, v1
	v_readfirstlane_b32 s27, v2
	v_readfirstlane_b32 s30, v1
	s_mul_i32 s38, s31, s27
	s_mul_hi_u32 s40, s31, s30
	s_mul_i32 s39, s37, s30
	s_add_i32 s38, s40, s38
	s_mul_i32 s41, s31, s30
	s_add_i32 s38, s38, s39
	s_mul_hi_u32 s40, s30, s41
	s_mul_hi_u32 s42, s27, s41
	s_mul_i32 s39, s27, s41
	s_mul_hi_u32 s41, s30, s38
	s_mul_i32 s30, s30, s38
	s_mul_hi_u32 s43, s27, s38
	s_add_u32 s30, s40, s30
	s_addc_u32 s40, 0, s41
	s_add_u32 s30, s30, s39
	s_mul_i32 s38, s27, s38
	s_addc_u32 s30, s40, s42
	s_addc_u32 s39, s43, 0
	s_add_u32 s30, s30, s38
	s_addc_u32 s38, 0, s39
	v_add_co_u32 v1, s30, v1, s30
	s_cmp_lg_u32 s30, 0
	s_addc_u32 s27, s27, s38
	v_readfirstlane_b32 s30, v1
	s_mul_i32 s38, s31, s27
	s_mul_hi_u32 s39, s31, s30
	s_mul_i32 s37, s37, s30
	s_add_i32 s38, s39, s38
	s_mul_i32 s31, s31, s30
	s_add_i32 s38, s38, s37
	s_mul_hi_u32 s39, s27, s31
	s_mul_i32 s40, s27, s31
	s_mul_hi_u32 s31, s30, s31
	s_mul_hi_u32 s41, s30, s38
	s_mul_i32 s30, s30, s38
	s_mul_hi_u32 s37, s27, s38
	s_add_u32 s30, s31, s30
	s_addc_u32 s31, 0, s41
	s_add_u32 s30, s30, s40
	s_mul_i32 s38, s27, s38
	s_addc_u32 s30, s31, s39
	s_addc_u32 s31, s37, 0
	s_add_u32 s30, s30, s38
	s_addc_u32 s31, 0, s31
	v_add_co_u32 v1, s30, v1, s30
	s_cmp_lg_u32 s30, 0
	s_addc_u32 s27, s27, s31
	v_readfirstlane_b32 s30, v1
	s_mul_i32 s37, s20, s27
	s_mul_hi_u32 s31, s20, s27
	s_mul_hi_u32 s38, s21, s27
	s_mul_i32 s27, s21, s27
	s_mul_hi_u32 s39, s20, s30
	s_mul_hi_u32 s40, s21, s30
	s_mul_i32 s30, s21, s30
	s_add_u32 s37, s39, s37
	s_addc_u32 s31, 0, s31
	s_add_u32 s30, s37, s30
	s_addc_u32 s30, s31, s40
	s_addc_u32 s31, s38, 0
	s_add_u32 s30, s30, s27
	s_addc_u32 s31, 0, s31
	s_mul_hi_u32 s27, s28, s30
	s_mul_i32 s38, s28, s31
	s_mul_i32 s39, s28, s30
	s_add_i32 s27, s27, s38
	v_sub_co_u32 v1, s38, s20, s39
	s_mul_i32 s37, s29, s30
	s_add_i32 s27, s27, s37
	v_sub_co_u32 v2, s39, v1, s28
	s_sub_i32 s37, s21, s27
	s_cmp_lg_u32 s38, 0
	s_subb_u32 s37, s37, s29
	s_cmp_lg_u32 s39, 0
	v_readfirstlane_b32 s39, v2
	s_subb_u32 s37, s37, 0
	s_cmp_ge_u32 s37, s29
	s_cselect_b32 s40, -1, 0
	s_cmp_ge_u32 s39, s28
	s_cselect_b32 s39, -1, 0
	s_cmp_eq_u32 s37, s29
	s_cselect_b32 s37, s39, s40
	s_add_u32 s39, s30, 1
	s_addc_u32 s40, s31, 0
	s_add_u32 s41, s30, 2
	s_addc_u32 s42, s31, 0
	s_cmp_lg_u32 s37, 0
	s_cselect_b32 s37, s41, s39
	s_cselect_b32 s39, s42, s40
	s_cmp_lg_u32 s38, 0
	v_readfirstlane_b32 s38, v1
	s_subb_u32 s27, s21, s27
	s_cmp_ge_u32 s27, s29
	s_cselect_b32 s40, -1, 0
	s_cmp_ge_u32 s38, s28
	s_cselect_b32 s38, -1, 0
	s_cmp_eq_u32 s27, s29
	s_cselect_b32 s27, s38, s40
	s_cmp_lg_u32 s27, 0
	s_mov_b32 s27, 0
	s_cselect_b32 s31, s39, s31
	s_cselect_b32 s30, s37, s30
.LBB0_6:                                ;   in Loop: Header=BB0_4 Depth=1
	s_andn2_b32 vcc_lo, exec_lo, s27
	s_cbranch_vccnz .LBB0_8
; %bb.7:                                ;   in Loop: Header=BB0_4 Depth=1
	v_cvt_f32_u32_e32 v1, s28
	s_sub_i32 s30, 0, s28
	v_rcp_iflag_f32_e32 v1, v1
	v_mul_f32_e32 v1, 0x4f7ffffe, v1
	v_cvt_u32_f32_e32 v1, v1
	v_readfirstlane_b32 s27, v1
	s_mul_i32 s30, s30, s27
	s_mul_hi_u32 s30, s27, s30
	s_add_i32 s27, s27, s30
	s_mul_hi_u32 s27, s20, s27
	s_mul_i32 s30, s27, s28
	s_add_i32 s31, s27, 1
	s_sub_i32 s30, s20, s30
	s_sub_i32 s37, s30, s28
	s_cmp_ge_u32 s30, s28
	s_cselect_b32 s27, s31, s27
	s_cselect_b32 s30, s37, s30
	s_add_i32 s31, s27, 1
	s_cmp_ge_u32 s30, s28
	s_cselect_b32 s30, s31, s27
	s_mov_b32 s31, s26
.LBB0_8:                                ;   in Loop: Header=BB0_4 Depth=1
	s_load_dwordx2 s[38:39], s[22:23], 0x0
	s_mul_i32 s17, s28, s17
	s_mul_hi_u32 s27, s28, s16
	s_mul_i32 s37, s29, s16
	s_mul_i32 s29, s30, s29
	s_mul_hi_u32 s40, s30, s28
	s_mul_i32 s41, s31, s28
	s_add_i32 s17, s27, s17
	s_add_i32 s27, s40, s29
	s_mul_i32 s42, s30, s28
	s_add_i32 s17, s17, s37
	s_add_i32 s27, s27, s41
	s_sub_u32 s20, s20, s42
	s_subb_u32 s21, s21, s27
	s_mul_i32 s16, s28, s16
	s_waitcnt lgkmcnt(0)
	s_mul_i32 s21, s38, s21
	s_mul_hi_u32 s27, s38, s20
	s_add_i32 s21, s27, s21
	s_mul_i32 s27, s39, s20
	s_mul_i32 s20, s38, s20
	s_add_i32 s21, s21, s27
	s_add_u32 s36, s20, s36
	s_addc_u32 s35, s21, s35
	s_add_u32 s24, s24, 1
	s_addc_u32 s25, s25, 0
	s_add_u32 s22, s22, 8
	v_cmp_ge_u64_e64 s20, s[24:25], s[18:19]
	s_addc_u32 s23, s23, 0
	s_add_u32 s0, s0, 8
	s_addc_u32 s1, s1, 0
	s_and_b32 vcc_lo, exec_lo, s20
	s_cbranch_vccnz .LBB0_10
; %bb.9:                                ;   in Loop: Header=BB0_4 Depth=1
	s_mov_b64 s[20:21], s[30:31]
	s_branch .LBB0_4
.LBB0_10:
	v_cmp_lt_u64_e64 s0, s[6:7], s[16:17]
	s_mov_b64 s[20:21], 0
	s_and_b32 vcc_lo, exec_lo, s0
	s_cbranch_vccnz .LBB0_12
; %bb.11:
	v_cvt_f32_u32_e32 v1, s16
	s_sub_i32 s1, 0, s16
	v_rcp_iflag_f32_e32 v1, v1
	v_mul_f32_e32 v1, 0x4f7ffffe, v1
	v_cvt_u32_f32_e32 v1, v1
	v_readfirstlane_b32 s0, v1
	s_mul_i32 s1, s1, s0
	s_mul_hi_u32 s1, s0, s1
	s_add_i32 s0, s0, s1
	s_mul_hi_u32 s0, s6, s0
	s_mul_i32 s1, s0, s16
	s_sub_i32 s1, s6, s1
	s_add_i32 s6, s0, 1
	s_sub_i32 s7, s1, s16
	s_cmp_ge_u32 s1, s16
	s_cselect_b32 s0, s6, s0
	s_cselect_b32 s1, s7, s1
	s_add_i32 s6, s0, 1
	s_cmp_ge_u32 s1, s16
	s_cselect_b32 s20, s6, s0
.LBB0_12:
	s_lshl_b64 s[0:1], s[18:19], 3
	v_mul_u32_u24_e32 v1, 0x1c72, v0
	s_add_u32 s0, s2, s0
	s_addc_u32 s1, s3, s1
                                        ; implicit-def: $vgpr10
                                        ; implicit-def: $vgpr8
                                        ; implicit-def: $vgpr6
                                        ; implicit-def: $vgpr3
                                        ; implicit-def: $vgpr7
                                        ; implicit-def: $vgpr9
                                        ; implicit-def: $vgpr11
                                        ; implicit-def: $vgpr13
                                        ; implicit-def: $vgpr12
                                        ; implicit-def: $vgpr4
                                        ; implicit-def: $vgpr5
	s_load_dwordx2 s[0:1], s[0:1], 0x0
	v_lshrrev_b32_e32 v17, 16, v1
	v_mul_lo_u16 v1, v17, 9
	v_sub_nc_u16 v1, v0, v1
	v_and_b32_e32 v18, 0xffff, v1
	s_waitcnt lgkmcnt(0)
	s_mul_i32 s1, s1, s20
	s_mul_hi_u32 s2, s0, s20
	s_mul_i32 s0, s0, s20
	v_add_co_u32 v1, s3, s34, v18
	s_add_i32 s1, s2, s1
	v_add_co_ci_u32_e64 v2, null, s33, 0, s3
	s_add_u32 s2, s0, s36
	s_addc_u32 s3, s1, s35
	s_add_u32 s16, s34, 9
	s_addc_u32 s17, s33, 0
	v_cmp_gt_u64_e64 s0, s[14:15], v[1:2]
	v_cmp_le_u64_e64 s7, s[16:17], s[14:15]
	v_cmp_gt_u64_e64 s6, s[16:17], s[14:15]
                                        ; implicit-def: $vgpr2
                                        ; implicit-def: $vgpr1
	s_or_b32 s14, s7, s0
	s_and_saveexec_b32 s1, s14
	s_cbranch_execz .LBB0_14
; %bb.13:
	v_add_nc_u32_e32 v11, 16, v17
	v_mad_u64_u32 v[1:2], null, s10, v18, 0
	v_mad_u64_u32 v[3:4], null, s8, v17, 0
	;; [unrolled: 1-line block ×3, first 2 shown]
	v_or_b32_e32 v12, 32, v17
	s_lshl_b64 s[14:15], s[2:3], 2
	v_or_b32_e32 v13, 64, v17
	s_add_u32 s14, s12, s14
	v_mad_u64_u32 v[7:8], null, s11, v18, v[2:3]
	v_mad_u64_u32 v[8:9], null, s9, v17, v[4:5]
	;; [unrolled: 1-line block ×3, first 2 shown]
	v_mov_b32_e32 v4, v6
	s_addc_u32 s15, s13, s15
	v_mov_b32_e32 v2, v7
	v_add_nc_u32_e32 v15, 0x50, v17
	v_or_b32_e32 v21, 0x60, v17
	v_mad_u64_u32 v[6:7], null, s9, v11, v[4:5]
	v_mov_b32_e32 v7, v10
	v_mov_b32_e32 v4, v8
	v_lshlrev_b64 v[1:2], 2, v[1:2]
	v_add_nc_u32_e32 v11, 48, v17
	v_or_b32_e32 v25, 0x80, v17
	v_mad_u64_u32 v[7:8], null, s9, v12, v[7:8]
	v_lshlrev_b64 v[3:4], 2, v[3:4]
	v_add_co_u32 v35, vcc_lo, s14, v1
	v_add_co_ci_u32_e32 v36, vcc_lo, s15, v2, vcc_lo
	v_mad_u64_u32 v[1:2], null, s8, v11, 0
	v_mov_b32_e32 v10, v7
	v_mad_u64_u32 v[7:8], null, s8, v13, 0
	v_add_co_u32 v3, vcc_lo, v35, v3
	v_lshlrev_b64 v[9:10], 2, v[9:10]
	v_lshlrev_b64 v[5:6], 2, v[5:6]
	v_add_co_ci_u32_e32 v4, vcc_lo, v36, v4, vcc_lo
	v_mad_u64_u32 v[11:12], null, s9, v11, v[2:3]
	v_mad_u64_u32 v[13:14], null, s9, v13, v[8:9]
	v_add_co_u32 v5, vcc_lo, v35, v5
	v_add_co_ci_u32_e32 v6, vcc_lo, v36, v6, vcc_lo
	v_mov_b32_e32 v2, v11
	v_mad_u64_u32 v[11:12], null, s8, v15, 0
	v_mov_b32_e32 v8, v13
	v_mad_u64_u32 v[13:14], null, s8, v21, 0
	v_lshlrev_b64 v[1:2], 2, v[1:2]
	v_add_co_u32 v9, vcc_lo, v35, v9
	v_lshlrev_b64 v[7:8], 2, v[7:8]
	v_add_co_ci_u32_e32 v10, vcc_lo, v36, v10, vcc_lo
	v_mad_u64_u32 v[15:16], null, s9, v15, v[12:13]
	v_add_nc_u32_e32 v16, 0x70, v17
	v_add_co_u32 v1, vcc_lo, v35, v1
	v_add_co_ci_u32_e32 v2, vcc_lo, v36, v2, vcc_lo
	v_mad_u64_u32 v[19:20], null, s8, v16, 0
	v_mov_b32_e32 v12, v15
	v_mad_u64_u32 v[14:15], null, s9, v21, v[14:15]
	v_add_co_u32 v7, vcc_lo, v35, v7
	v_lshlrev_b64 v[11:12], 2, v[11:12]
	v_mov_b32_e32 v15, v20
	v_mad_u64_u32 v[21:22], null, s8, v25, 0
	v_add_co_ci_u32_e32 v8, vcc_lo, v36, v8, vcc_lo
	v_mad_u64_u32 v[15:16], null, s9, v16, v[15:16]
	v_add_nc_u32_e32 v16, 0x90, v17
	v_add_co_u32 v23, vcc_lo, v35, v11
	v_add_co_ci_u32_e32 v24, vcc_lo, v36, v12, vcc_lo
	v_lshlrev_b64 v[11:12], 2, v[13:14]
	v_mov_b32_e32 v20, v15
	v_mad_u64_u32 v[14:15], null, s8, v16, 0
	v_mov_b32_e32 v13, v22
	v_or_b32_e32 v30, 0xa0, v17
	v_add_co_u32 v28, vcc_lo, v35, v11
	v_add_co_ci_u32_e32 v29, vcc_lo, v36, v12, vcc_lo
	v_mad_u64_u32 v[25:26], null, s9, v25, v[13:14]
	v_mad_u64_u32 v[26:27], null, s8, v30, 0
	v_lshlrev_b64 v[12:13], 2, v[19:20]
	v_mov_b32_e32 v11, v15
	v_mov_b32_e32 v22, v25
	v_add_nc_u32_e32 v25, 0xb0, v17
	v_mad_u64_u32 v[15:16], null, s9, v16, v[11:12]
	v_mov_b32_e32 v11, v27
	v_or_b32_e32 v16, 0xc0, v17
	v_mad_u64_u32 v[19:20], null, s8, v25, 0
	v_add_co_u32 v33, vcc_lo, v35, v12
	v_mad_u64_u32 v[30:31], null, s9, v30, v[11:12]
	v_add_co_ci_u32_e32 v34, vcc_lo, v36, v13, vcc_lo
	v_lshlrev_b64 v[12:13], 2, v[21:22]
	v_mov_b32_e32 v11, v20
	v_mad_u64_u32 v[31:32], null, s8, v16, 0
	v_mov_b32_e32 v27, v30
	v_mad_u64_u32 v[20:21], null, s9, v25, v[11:12]
	v_add_co_u32 v21, vcc_lo, v35, v12
	v_add_co_ci_u32_e32 v22, vcc_lo, v36, v13, vcc_lo
	v_lshlrev_b64 v[12:13], 2, v[14:15]
	v_mov_b32_e32 v11, v32
	v_mad_u64_u32 v[14:15], null, s9, v16, v[11:12]
	v_lshlrev_b64 v[15:16], 2, v[26:27]
	v_add_co_u32 v25, vcc_lo, v35, v12
	v_add_co_ci_u32_e32 v26, vcc_lo, v36, v13, vcc_lo
	v_lshlrev_b64 v[11:12], 2, v[19:20]
	v_mov_b32_e32 v32, v14
	v_add_co_u32 v13, vcc_lo, v35, v15
	v_add_co_ci_u32_e32 v14, vcc_lo, v36, v16, vcc_lo
	v_lshlrev_b64 v[15:16], 2, v[31:32]
	v_add_co_u32 v19, vcc_lo, v35, v11
	v_add_co_ci_u32_e32 v20, vcc_lo, v36, v12, vcc_lo
	v_add_co_u32 v15, vcc_lo, v35, v15
	v_add_co_ci_u32_e32 v16, vcc_lo, v36, v16, vcc_lo
	s_clause 0xc
	global_load_dword v4, v[3:4], off
	global_load_dword v5, v[5:6], off
	;; [unrolled: 1-line block ×13, first 2 shown]
.LBB0_14:
	s_or_b32 exec_lo, exec_lo, s1
	s_waitcnt vmcnt(11)
	v_pk_add_f16 v14, v4, v5
	s_waitcnt vmcnt(0)
	v_pk_add_f16 v15, v5, v1
	v_pk_add_f16 v16, v5, v1 neg_lo:[0,1] neg_hi:[0,1]
	v_cmp_gt_u32_e64 s1, 0x75, v0
                                        ; implicit-def: $vgpr0
	v_pk_add_f16 v5, v14, v12
	v_mul_f16_e32 v14, 0x3b15, v15
	v_pk_mul_f16 v27, 0xb94ebb7b, v16
	v_lshrrev_b32_e32 v19, 16, v16
	v_lshrrev_b32_e32 v20, 16, v15
	v_pk_add_f16 v5, v5, v10
	v_mul_f16_e32 v21, 0xb770, v16
	v_pk_fma_f16 v36, 0xb5acb9fd, v15, v27 op_sel:[0,0,1] op_sel_hi:[1,1,0]
	v_mul_f16_e32 v22, 0x388b, v15
	v_mul_f16_e32 v23, 0xba95, v16
	v_pk_add_f16 v5, v5, v8
	v_mul_f16_e32 v24, 0x2fb7, v15
	v_mul_f16_e32 v25, 0xbbf1, v16
	;; [unrolled: 1-line block ×4, first 2 shown]
	v_pk_add_f16 v5, v5, v6
	v_fmamk_f16 v29, v19, 0x3770, v14
	v_fmac_f16_e32 v14, 0xb770, v19
	v_mul_f16_e32 v16, 0xb3a8, v16
	v_fmamk_f16 v30, v20, 0x3b15, v21
	v_pk_add_f16 v5, v5, v2
	v_fma_f16 v21, v20, 0x3b15, -v21
	v_fmamk_f16 v31, v19, 0x3a95, v22
	v_fmamk_f16 v32, v20, 0x388b, v23
	v_fmac_f16_e32 v22, 0xba95, v19
	v_pk_add_f16 v5, v5, v3
	v_fma_f16 v23, v20, 0x388b, -v23
	v_fmamk_f16 v33, v19, 0x3bf1, v24
	v_fmamk_f16 v34, v20, 0x2fb7, v25
	v_fmac_f16_e32 v24, 0xbbf1, v19
	v_pk_add_f16 v37, v5, v7
	v_pk_fma_f16 v5, 0xb5acb9fd, v15, v27 op_sel:[0,0,1] op_sel_hi:[1,1,0] neg_lo:[0,0,1] neg_hi:[0,0,1]
	v_mul_f16_e32 v15, 0xbbc4, v15
	v_fma_f16 v25, v20, 0x2fb7, -v25
	v_fmamk_f16 v35, v19, 0x3b7b, v26
	v_pk_add_f16 v37, v37, v9
	v_bfi_b32 v38, 0xffff, v36, v5
	v_fmac_f16_e32 v26, 0xbb7b, v19
	v_fmamk_f16 v27, v20, 0xb9fd, v28
	v_add_f16_e32 v29, v4, v29
	v_pk_add_f16 v37, v37, v11
	v_add_f16_e32 v14, v4, v14
	v_fma_f16 v28, v20, 0xb9fd, -v28
	v_fmamk_f16 v39, v20, 0xbbc4, v16
	v_fma_f16 v16, v20, 0xbbc4, -v16
	v_pk_add_f16 v37, v37, v13
	v_add_f16_sdwa v30, v4, v30 dst_sel:DWORD dst_unused:UNUSED_PAD src0_sel:WORD_1 src1_sel:DWORD
	v_add_f16_sdwa v21, v4, v21 dst_sel:DWORD dst_unused:UNUSED_PAD src0_sel:WORD_1 src1_sel:DWORD
	;; [unrolled: 1-line block ×3, first 2 shown]
	v_add_f16_e32 v22, v4, v22
	v_pk_add_f16 v1, v37, v1
	v_pk_add_f16 v37, v4, v38
	;; [unrolled: 1-line block ×3, first 2 shown]
	v_pk_add_f16 v12, v12, v13 neg_lo:[0,1] neg_hi:[0,1]
	v_fmamk_f16 v13, v19, 0x33a8, v15
	v_fmac_f16_e32 v15, 0xb3a8, v19
	v_add_f16_sdwa v23, v4, v23 dst_sel:DWORD dst_unused:UNUSED_PAD src0_sel:WORD_1 src1_sel:DWORD
	v_mul_f16_e32 v40, 0x388b, v38
	v_lshrrev_b32_e32 v41, 16, v12
	v_lshrrev_b32_e32 v20, 16, v38
	v_mul_f16_e32 v42, 0xba95, v12
	v_mul_f16_e32 v44, 0xbb7b, v12
	v_add_f16_e32 v33, v4, v33
	v_fmamk_f16 v19, v41, 0x3a95, v40
	v_fmac_f16_e32 v40, 0xba95, v41
	v_fmamk_f16 v43, v20, 0x388b, v42
	v_fma_f16 v42, v20, 0x388b, -v42
	v_add_f16_sdwa v34, v4, v34 dst_sel:DWORD dst_unused:UNUSED_PAD src0_sel:WORD_1 src1_sel:DWORD
	v_add_f16_e32 v19, v19, v29
	v_mul_f16_e32 v29, 0xb5ac, v38
	v_add_f16_e32 v14, v40, v14
	v_fmamk_f16 v40, v20, 0xb5ac, v44
	v_add_f16_e32 v30, v43, v30
	v_add_f16_e32 v21, v42, v21
	v_fmamk_f16 v45, v41, 0x3b7b, v29
	v_fmac_f16_e32 v29, 0xbb7b, v41
	v_mul_f16_e32 v42, 0xbbc4, v38
	v_mul_f16_e32 v43, 0xb3a8, v12
	v_add_f16_e32 v32, v40, v32
	v_fma_f16 v40, v20, 0xb5ac, -v44
	v_add_f16_e32 v24, v4, v24
	v_add_f16_e32 v22, v29, v22
	v_fmamk_f16 v29, v41, 0x33a8, v42
	v_fmamk_f16 v44, v20, 0xbbc4, v43
	v_fmac_f16_e32 v42, 0xb3a8, v41
	v_add_f16_e32 v23, v40, v23
	v_pk_mul_f16 v40, 0x3bf1394e, v12
	v_add_f16_e32 v31, v4, v31
	v_add_f16_e32 v29, v29, v33
	;; [unrolled: 1-line block ×4, first 2 shown]
	v_mul_f16_e32 v34, 0xb9fd, v38
	v_pk_fma_f16 v42, 0xb9fd2fb7, v38, v40 op_sel:[0,0,1] op_sel_hi:[1,1,0]
	v_pk_fma_f16 v40, 0xb9fd2fb7, v38, v40 op_sel:[0,0,1] op_sel_hi:[1,1,0] neg_lo:[0,0,1] neg_hi:[0,0,1]
	v_add_f16_sdwa v25, v4, v25 dst_sel:DWORD dst_unused:UNUSED_PAD src0_sel:WORD_1 src1_sel:DWORD
	v_add_f16_e32 v26, v4, v26
	v_add_f16_e32 v31, v45, v31
	v_mul_f16_e32 v44, 0x3bf1, v12
	v_fma_f16 v43, v20, 0xbbc4, -v43
	v_fmamk_f16 v45, v41, 0xb94e, v34
	v_fmac_f16_e32 v34, 0x394e, v41
	v_bfi_b32 v47, 0xffff, v42, v40
	v_add_f16_e32 v35, v4, v35
	v_add_f16_sdwa v28, v4, v28 dst_sel:DWORD dst_unused:UNUSED_PAD src0_sel:WORD_1 src1_sel:DWORD
	v_add_f16_e32 v25, v43, v25
	v_add_f16_e32 v26, v34, v26
	v_pk_add_f16 v34, v47, v37
	v_mul_f16_e32 v37, 0x3b15, v38
	v_mul_f16_e32 v12, 0x3770, v12
	v_fma_f16 v38, v20, 0x2fb7, -v44
	v_pk_add_f16 v43, v10, v11
	v_pk_add_f16 v10, v10, v11 neg_lo:[0,1] neg_hi:[0,1]
	v_add_f16_e32 v13, v4, v13
	v_add_f16_sdwa v39, v4, v39 dst_sel:DWORD dst_unused:UNUSED_PAD src0_sel:WORD_1 src1_sel:DWORD
	v_fmamk_f16 v46, v20, 0x2fb7, v44
	v_add_f16_e32 v35, v45, v35
	v_fmamk_f16 v11, v41, 0xb770, v37
	v_fmamk_f16 v44, v20, 0x3b15, v12
	v_add_f16_e32 v28, v38, v28
	v_mul_f16_e32 v38, 0x2fb7, v43
	v_lshrrev_b32_e32 v45, 16, v10
	v_add_f16_e32 v15, v4, v15
	v_add_f16_sdwa v16, v4, v16 dst_sel:DWORD dst_unused:UNUSED_PAD src0_sel:WORD_1 src1_sel:DWORD
	v_add_f16_e32 v11, v11, v13
	v_add_f16_e32 v13, v44, v39
	v_fmac_f16_e32 v37, 0x3770, v41
	v_fma_f16 v12, v20, 0x3b15, -v12
	v_fmamk_f16 v20, v45, 0x3bf1, v38
	v_lshrrev_b32_e32 v39, 16, v43
	v_mul_f16_e32 v41, 0xbbf1, v10
	v_add_f16_e32 v15, v37, v15
	v_add_f16_e32 v12, v12, v16
	;; [unrolled: 1-line block ×3, first 2 shown]
	v_mul_f16_e32 v19, 0xbbc4, v43
	v_fmamk_f16 v20, v39, 0x2fb7, v41
	v_fma_f16 v37, v39, 0x2fb7, -v41
	v_mul_f16_e32 v41, 0xb3a8, v10
	v_fmac_f16_e32 v38, 0xbbf1, v45
	v_fmamk_f16 v44, v45, 0x33a8, v19
	v_add_f16_e32 v20, v20, v30
	v_add_f16_e32 v21, v37, v21
	v_fmamk_f16 v30, v39, 0xbbc4, v41
	v_add_f16_e32 v14, v38, v14
	v_fmac_f16_e32 v19, 0xb3a8, v45
	v_mul_f16_e32 v37, 0xb5ac, v43
	v_mul_f16_e32 v38, 0x3b7b, v10
	v_add_f16_e32 v30, v30, v32
	v_fma_f16 v32, v39, 0xbbc4, -v41
	v_add_f16_e32 v19, v19, v22
	v_fmamk_f16 v22, v45, 0xbb7b, v37
	v_fmamk_f16 v41, v39, 0xb5ac, v38
	v_fmac_f16_e32 v37, 0x3b7b, v45
	v_add_f16_e32 v23, v32, v23
	v_pk_mul_f16 v32, 0xba953770, v10
	v_add_f16_e32 v22, v22, v29
	v_add_f16_e32 v29, v41, v33
	;; [unrolled: 1-line block ×3, first 2 shown]
	v_mul_f16_e32 v33, 0x3b15, v43
	v_pk_fma_f16 v37, 0x3b15388b, v43, v32 op_sel:[0,0,1] op_sel_hi:[1,1,0]
	v_pk_fma_f16 v32, 0x3b15388b, v43, v32 op_sel:[0,0,1] op_sel_hi:[1,1,0] neg_lo:[0,0,1] neg_hi:[0,0,1]
	v_add_f16_sdwa v27, v4, v27 dst_sel:DWORD dst_unused:UNUSED_PAD src0_sel:WORD_1 src1_sel:DWORD
	v_add_f16_e32 v31, v44, v31
	v_mul_f16_e32 v41, 0xba95, v10
	v_fma_f16 v38, v39, 0xb5ac, -v38
	v_fmamk_f16 v44, v45, 0xb770, v33
	v_fmac_f16_e32 v33, 0x3770, v45
	v_bfi_b32 v47, 0xffff, v37, v32
	v_add_f16_e32 v27, v46, v27
	v_fmamk_f16 v46, v39, 0x388b, v41
	v_add_f16_e32 v25, v38, v25
	v_add_f16_e32 v26, v33, v26
	v_pk_add_f16 v33, v47, v34
	v_mul_f16_e32 v34, 0xb9fd, v43
	v_mul_f16_e32 v10, 0xb94e, v10
	v_fma_f16 v38, v39, 0x388b, -v41
	v_pk_add_f16 v41, v8, v9
	v_pk_add_f16 v8, v8, v9 neg_lo:[0,1] neg_hi:[0,1]
	v_add_f16_e32 v35, v44, v35
	v_fmamk_f16 v9, v45, 0x394e, v34
	v_fmamk_f16 v43, v39, 0xb9fd, v10
	v_add_f16_e32 v28, v38, v28
	v_mul_f16_e32 v38, 0xb5ac, v41
	v_lshrrev_b32_e32 v44, 16, v8
	v_add_f16_e32 v9, v9, v11
	v_add_f16_e32 v11, v43, v13
	v_fmac_f16_e32 v34, 0xb94e, v45
	v_fma_f16 v10, v39, 0xb9fd, -v10
	v_fmamk_f16 v13, v44, 0x3b7b, v38
	v_lshrrev_b32_e32 v39, 16, v41
	v_mul_f16_e32 v43, 0xbb7b, v8
	v_add_f16_e32 v15, v34, v15
	v_add_f16_e32 v10, v10, v12
	;; [unrolled: 1-line block ×3, first 2 shown]
	v_mul_f16_e32 v13, 0xb9fd, v41
	v_fmamk_f16 v16, v39, 0xb5ac, v43
	v_fma_f16 v34, v39, 0xb5ac, -v43
	v_mul_f16_e32 v43, 0x394e, v8
	v_fmac_f16_e32 v38, 0xbb7b, v44
	v_fmamk_f16 v45, v44, 0xb94e, v13
	v_add_f16_e32 v16, v16, v20
	v_add_f16_e32 v20, v34, v21
	v_fmamk_f16 v21, v39, 0xb9fd, v43
	v_add_f16_e32 v14, v38, v14
	v_fmac_f16_e32 v13, 0x394e, v44
	v_mul_f16_e32 v34, 0x3b15, v41
	v_mul_f16_e32 v38, 0x3770, v8
	v_add_f16_e32 v21, v21, v30
	v_fma_f16 v30, v39, 0xb9fd, -v43
	v_add_f16_e32 v13, v13, v19
	v_fmamk_f16 v19, v44, 0xb770, v34
	v_fmamk_f16 v43, v39, 0x3b15, v38
	v_fmac_f16_e32 v34, 0x3770, v44
	v_add_f16_e32 v23, v30, v23
	v_pk_mul_f16 v30, 0x33a8bbf1, v8
	v_add_f16_e32 v19, v19, v22
	v_add_f16_e32 v22, v43, v29
	;; [unrolled: 1-line block ×3, first 2 shown]
	v_mul_f16_e32 v29, 0x2fb7, v41
	v_pk_fma_f16 v34, 0x2fb7bbc4, v41, v30 op_sel:[0,0,1] op_sel_hi:[1,1,0]
	v_pk_fma_f16 v30, 0x2fb7bbc4, v41, v30 op_sel:[0,0,1] op_sel_hi:[1,1,0] neg_lo:[0,0,1] neg_hi:[0,0,1]
	v_add_f16_e32 v31, v45, v31
	v_mul_f16_e32 v43, 0x33a8, v8
	v_fma_f16 v38, v39, 0x3b15, -v38
	v_fmamk_f16 v45, v44, 0x3bf1, v29
	v_fmac_f16_e32 v29, 0xbbf1, v44
	v_bfi_b32 v47, 0xffff, v34, v30
	v_mul_f16_e32 v8, 0x3a95, v8
	v_add_f16_e32 v25, v38, v25
	v_fma_f16 v38, v39, 0xbbc4, -v43
	v_add_f16_e32 v26, v29, v26
	v_pk_add_f16 v29, v47, v33
	v_mul_f16_e32 v33, 0x388b, v41
	v_pk_add_f16 v41, v6, v7
	v_pk_add_f16 v6, v6, v7 neg_lo:[0,1] neg_hi:[0,1]
	v_add_f16_e32 v27, v46, v27
	v_fmamk_f16 v46, v39, 0xbbc4, v43
	v_add_f16_e32 v35, v45, v35
	v_fmamk_f16 v7, v44, 0xba95, v33
	v_fmamk_f16 v43, v39, 0x388b, v8
	v_add_f16_e32 v28, v38, v28
	v_mul_f16_e32 v38, 0xb9fd, v41
	v_lshrrev_b32_e32 v45, 16, v6
	v_add_f16_e32 v7, v7, v9
	v_add_f16_e32 v9, v43, v11
	v_fmac_f16_e32 v33, 0x3a95, v44
	v_fma_f16 v8, v39, 0x388b, -v8
	v_fmamk_f16 v11, v45, 0x394e, v38
	v_lshrrev_b32_e32 v39, 16, v41
	v_mul_f16_e32 v43, 0xb94e, v6
	v_add_f16_e32 v15, v33, v15
	v_add_f16_e32 v8, v8, v10
	;; [unrolled: 1-line block ×3, first 2 shown]
	v_mul_f16_e32 v11, 0x2fb7, v41
	v_fmamk_f16 v12, v39, 0xb9fd, v43
	v_fma_f16 v33, v39, 0xb9fd, -v43
	v_fmac_f16_e32 v38, 0xb94e, v45
	v_mul_f16_e32 v43, 0x3bf1, v6
	v_fmamk_f16 v44, v45, 0xbbf1, v11
	v_add_f16_e32 v12, v12, v16
	v_add_f16_e32 v16, v33, v20
	v_fmac_f16_e32 v11, 0x3bf1, v45
	v_mul_f16_e32 v33, 0x388b, v41
	v_add_f16_e32 v14, v38, v14
	v_fmamk_f16 v20, v39, 0x2fb7, v43
	v_mul_f16_e32 v38, 0xba95, v6
	v_add_f16_e32 v11, v11, v13
	v_fmamk_f16 v13, v45, 0x3a95, v33
	v_fmac_f16_e32 v33, 0xba95, v45
	v_add_f16_e32 v20, v20, v21
	v_fma_f16 v21, v39, 0x2fb7, -v43
	v_fmamk_f16 v43, v39, 0x388b, v38
	v_add_f16_e32 v13, v13, v19
	v_mul_f16_e32 v19, 0xbbc4, v41
	v_add_f16_e32 v33, v33, v24
	v_add_f16_e32 v23, v21, v23
	v_pk_mul_f16 v21, 0x377033a8, v6
	v_add_f16_e32 v43, v43, v22
	v_mul_f16_e32 v22, 0x3770, v6
	v_fmamk_f16 v24, v45, 0xb3a8, v19
	v_fmac_f16_e32 v19, 0x33a8, v45
	v_add_f16_e32 v27, v46, v27
	v_add_f16_e32 v31, v44, v31
	v_pk_fma_f16 v44, 0xbbc43b15, v41, v21 op_sel:[0,0,1] op_sel_hi:[1,1,0]
	v_pk_fma_f16 v46, 0xbbc43b15, v41, v21 op_sel:[0,0,1] op_sel_hi:[1,1,0] neg_lo:[0,0,1] neg_hi:[0,0,1]
	v_fma_f16 v21, v39, 0x388b, -v38
	v_fmamk_f16 v38, v39, 0x3b15, v22
	v_add_f16_e32 v48, v19, v26
	v_mul_f16_e32 v19, 0xb5ac, v41
	v_bfi_b32 v47, 0xffff, v44, v46
	v_mul_f16_e32 v6, 0xbb7b, v6
	v_add_f16_e32 v27, v38, v27
	v_pk_add_f16 v38, v2, v3
	v_pk_add_f16 v41, v2, v3 neg_lo:[0,1] neg_hi:[0,1]
	v_fmamk_f16 v2, v45, 0x3b7b, v19
	v_add_f16_e32 v25, v21, v25
	v_pk_add_f16 v29, v47, v29
	v_fma_f16 v21, v39, 0x3b15, -v22
	v_fmamk_f16 v3, v39, 0xb5ac, v6
	v_mul_f16_e32 v22, 0xbbc4, v38
	v_lshrrev_b32_e32 v47, 16, v41
	v_add_f16_e32 v49, v2, v7
	v_fma_f16 v2, v39, 0xb5ac, -v6
	v_add_f16_e32 v50, v3, v9
	v_fmac_f16_e32 v19, 0xbb7b, v45
	v_fmamk_f16 v3, v47, 0x33a8, v22
	v_lshrrev_b32_e32 v39, 16, v38
	v_mul_f16_e32 v6, 0xb3a8, v41
	v_add_f16_e32 v45, v2, v8
	v_mul_f16_e32 v8, 0x3b15, v38
	v_mul_f16_e32 v9, 0x3770, v41
	v_add_f16_e32 v2, v3, v10
	v_fmamk_f16 v3, v39, 0xbbc4, v6
	v_fmac_f16_e32 v22, 0xb3a8, v47
	v_fma_f16 v6, v39, 0xbbc4, -v6
	v_fmamk_f16 v7, v47, 0xb770, v8
	v_fmamk_f16 v10, v39, 0x3b15, v9
	v_fmac_f16_e32 v8, 0x3770, v47
	v_add_f16_e32 v28, v21, v28
	v_add_f16_e32 v15, v19, v15
	;; [unrolled: 1-line block ×5, first 2 shown]
	v_fma_f16 v9, v39, 0x3b15, -v9
	v_add_f16_e32 v22, v10, v20
	v_mul_f16_e32 v10, 0xb9fd, v38
	v_add_f16_e32 v6, v8, v11
	v_add_f16_sdwa v8, v4, v36 dst_sel:DWORD dst_unused:UNUSED_PAD src0_sel:WORD_1 src1_sel:WORD_1
	v_add_f16_e32 v4, v4, v5
	v_mul_f16_e32 v12, 0xb94e, v41
	v_add_f16_e32 v20, v9, v23
	v_fmamk_f16 v9, v47, 0x394e, v10
	v_add_f16_sdwa v14, v42, v8 dst_sel:DWORD dst_unused:UNUSED_PAD src0_sel:WORD_1 src1_sel:DWORD
	v_add_f16_e32 v4, v40, v4
	v_fmamk_f16 v11, v39, 0xb9fd, v12
	v_fmac_f16_e32 v10, 0xb94e, v47
	v_add_f16_e32 v8, v9, v13
	v_add_f16_sdwa v9, v37, v14 dst_sel:DWORD dst_unused:UNUSED_PAD src0_sel:WORD_1 src1_sel:DWORD
	v_add_f16_e32 v4, v32, v4
	v_add_f16_e32 v35, v24, v35
	;; [unrolled: 1-line block ×4, first 2 shown]
	v_fma_f16 v10, v39, 0xb9fd, -v12
	v_mul_f16_e32 v12, 0x388b, v38
	v_pk_mul_f16 v11, 0xbb7b3a95, v41
	v_add_f16_sdwa v9, v34, v9 dst_sel:DWORD dst_unused:UNUSED_PAD src0_sel:WORD_1 src1_sel:DWORD
	v_add_f16_e32 v4, v30, v4
	v_add_f16_e32 v7, v7, v31
	;; [unrolled: 1-line block ×3, first 2 shown]
	v_fmamk_f16 v10, v47, 0xba95, v12
	v_pk_fma_f16 v13, 0x388bb5ac, v38, v11 op_sel:[0,0,1] op_sel_hi:[1,1,0]
	v_add_f16_sdwa v9, v44, v9 dst_sel:DWORD dst_unused:UNUSED_PAD src0_sel:WORD_1 src1_sel:DWORD
	v_fmac_f16_e32 v12, 0x3a95, v47
	v_pk_fma_f16 v14, 0x388bb5ac, v38, v11 op_sel:[0,0,1] op_sel_hi:[1,1,0] neg_lo:[0,0,1] neg_hi:[0,0,1]
	v_add_f16_e32 v4, v46, v4
	v_mul_f16_e32 v16, 0xbb7b, v41
	v_mul_f16_e32 v31, 0x3bf1, v41
	v_add_f16_e32 v11, v10, v35
	v_add_f16_sdwa v26, v13, v9 dst_sel:DWORD dst_unused:UNUSED_PAD src0_sel:WORD_1 src1_sel:DWORD
	v_add_f16_e32 v10, v12, v48
	v_add_f16_e32 v12, v14, v4
	v_fmamk_f16 v4, v39, 0xb5ac, v16
	v_mul_f16_e32 v30, 0x2fb7, v38
	v_bfi_b32 v9, 0xffff, v13, v14
	v_fma_f16 v13, v39, 0xb5ac, -v16
	v_fmamk_f16 v16, v39, 0x2fb7, v31
	v_add_f16_e32 v27, v4, v27
	v_fmamk_f16 v14, v47, 0xbbf1, v30
	v_pk_add_f16 v9, v9, v29
	v_fmac_f16_e32 v30, 0x3bf1, v47
	v_add_f16_e32 v29, v16, v50
	v_fma_f16 v16, v39, 0x2fb7, -v31
	v_add_f16_e32 v25, v13, v28
	v_mad_u32_u24 v4, 0x1d4, v17, 0
	v_add_f16_e32 v13, v14, v49
	v_add_f16_e32 v14, v30, v15
	;; [unrolled: 1-line block ×3, first 2 shown]
	v_pack_b32_f16 v28, v2, v21
	v_lshl_add_u32 v31, v18, 2, v4
	v_pack_b32_f16 v15, v13, v29
	v_pack_b32_f16 v32, v7, v22
	v_pack_b32_f16 v16, v14, v30
	v_pack_b32_f16 v33, v8, v24
	v_pack_b32_f16 v34, v11, v26
	v_pack_b32_f16 v35, v12, v27
	ds_write2_b32 v31, v1, v28 offset1:9
	ds_write2_b32 v31, v32, v33 offset0:18 offset1:27
	ds_write2_b32 v31, v34, v35 offset0:36 offset1:45
	v_pack_b32_f16 v32, v9, v25
	v_bfi_b32 v33, 0xffff, v10, v9
	ds_write2_b32 v31, v15, v16 offset0:54 offset1:63
	v_lshrrev_b32_e32 v28, 16, v9
	v_pack_b32_f16 v15, v3, v19
	v_pack_b32_f16 v34, v5, v23
	;; [unrolled: 1-line block ×3, first 2 shown]
	ds_write2_b32 v31, v32, v33 offset0:72 offset1:81
	ds_write2_b32 v31, v34, v35 offset0:90 offset1:99
	ds_write_b32 v31, v15 offset:432
	s_waitcnt lgkmcnt(0)
	s_barrier
	buffer_gl0_inv
                                        ; implicit-def: $vgpr31
                                        ; implicit-def: $vgpr15
                                        ; implicit-def: $vgpr32
	s_and_saveexec_b32 s14, s1
	s_cbranch_execz .LBB0_16
; %bb.15:
	v_mul_i32_i24_e32 v0, 0xfffffe50, v17
	v_lshlrev_b32_e32 v1, 2, v18
	v_add3_u32 v0, v4, v0, v1
	v_add_nc_u32_e32 v3, 0xe00, v0
	v_add_nc_u32_e32 v4, 0x1200, v0
	;; [unrolled: 1-line block ×6, first 2 shown]
	ds_read2_b32 v[1:2], v0 offset1:117
	v_add_nc_u32_e32 v0, 0xa00, v0
	ds_read2_b32 v[9:10], v3 offset0:40 offset1:157
	ds_read2_b32 v[5:6], v4 offset0:18 offset1:135
	;; [unrolled: 1-line block ×7, first 2 shown]
	s_waitcnt lgkmcnt(7)
	v_lshrrev_b32_e32 v21, 16, v2
	s_waitcnt lgkmcnt(6)
	v_lshrrev_b32_e32 v25, 16, v9
	v_lshrrev_b32_e32 v28, 16, v10
	s_waitcnt lgkmcnt(5)
	v_lshrrev_b32_e32 v23, 16, v5
	;; [unrolled: 3-line block ×7, first 2 shown]
	v_lshrrev_b32_e32 v30, 16, v14
.LBB0_16:
	s_or_b32 exec_lo, exec_lo, s14
	v_mul_lo_u16 v33, v17, 20
	v_mov_b32_e32 v34, 2
	v_lshrrev_b32_e32 v48, 16, v1
	v_lshrrev_b16 v33, 8, v33
	v_mul_lo_u16 v33, v33, 13
	v_sub_nc_u16 v33, v17, v33
	v_mul_lo_u16 v33, v33, 15
	v_lshlrev_b32_sdwa v45, v34, v33 dst_sel:DWORD dst_unused:UNUSED_PAD src0_sel:DWORD src1_sel:BYTE_0
	s_clause 0x3
	global_load_dwordx4 v[33:36], v45, s[4:5]
	global_load_dwordx4 v[37:40], v45, s[4:5] offset:16
	global_load_dwordx4 v[41:44], v45, s[4:5] offset:32
	global_load_dwordx3 v[45:47], v45, s[4:5] offset:48
	s_and_b32 s5, s1, s7
	s_waitcnt vmcnt(3)
	v_mul_f16_sdwa v51, v22, v34 dst_sel:DWORD dst_unused:UNUSED_PAD src0_sel:DWORD src1_sel:WORD_1
	v_mul_f16_sdwa v52, v7, v34 dst_sel:DWORD dst_unused:UNUSED_PAD src0_sel:DWORD src1_sel:WORD_1
	;; [unrolled: 1-line block ×8, first 2 shown]
	s_waitcnt vmcnt(2)
	v_mul_f16_sdwa v57, v27, v37 dst_sel:DWORD dst_unused:UNUSED_PAD src0_sel:DWORD src1_sel:WORD_1
	v_mul_f16_sdwa v58, v12, v37 dst_sel:DWORD dst_unused:UNUSED_PAD src0_sel:DWORD src1_sel:WORD_1
	;; [unrolled: 1-line block ×3, first 2 shown]
	v_fma_f16 v7, v7, v34, -v51
	v_fma_f16 v8, v8, v35, -v53
	v_mul_f16_sdwa v51, v30, v39 dst_sel:DWORD dst_unused:UNUSED_PAD src0_sel:DWORD src1_sel:WORD_1
	v_mul_f16_sdwa v53, v14, v39 dst_sel:DWORD dst_unused:UNUSED_PAD src0_sel:DWORD src1_sel:WORD_1
	v_fmac_f16_e32 v52, v22, v34
	v_mul_f16_sdwa v22, v9, v40 dst_sel:DWORD dst_unused:UNUSED_PAD src0_sel:DWORD src1_sel:WORD_1
	v_mul_f16_sdwa v59, v29, v38 dst_sel:DWORD dst_unused:UNUSED_PAD src0_sel:DWORD src1_sel:WORD_1
	v_fmac_f16_e32 v50, v21, v33
	v_mul_f16_sdwa v21, v25, v40 dst_sel:DWORD dst_unused:UNUSED_PAD src0_sel:DWORD src1_sel:WORD_1
	v_fmac_f16_e32 v54, v24, v35
	s_waitcnt vmcnt(1)
	v_mul_f16_sdwa v24, v28, v41 dst_sel:DWORD dst_unused:UNUSED_PAD src0_sel:DWORD src1_sel:WORD_1
	v_fmac_f16_e32 v56, v26, v36
	v_mul_f16_sdwa v26, v10, v41 dst_sel:DWORD dst_unused:UNUSED_PAD src0_sel:DWORD src1_sel:WORD_1
	v_fma_f16 v2, v2, v33, -v49
	v_fma_f16 v11, v11, v36, -v55
	v_mul_f16_sdwa v33, v23, v42 dst_sel:DWORD dst_unused:UNUSED_PAD src0_sel:DWORD src1_sel:WORD_1
	v_mul_f16_sdwa v34, v5, v42 dst_sel:DWORD dst_unused:UNUSED_PAD src0_sel:DWORD src1_sel:WORD_1
	v_mul_f16_sdwa v35, v20, v43 dst_sel:DWORD dst_unused:UNUSED_PAD src0_sel:DWORD src1_sel:WORD_1
	v_mul_f16_sdwa v36, v6, v43 dst_sel:DWORD dst_unused:UNUSED_PAD src0_sel:DWORD src1_sel:WORD_1
	v_fma_f16 v12, v12, v37, -v57
	v_mul_f16_sdwa v49, v19, v44 dst_sel:DWORD dst_unused:UNUSED_PAD src0_sel:DWORD src1_sel:WORD_1
	v_mul_f16_sdwa v55, v3, v44 dst_sel:DWORD dst_unused:UNUSED_PAD src0_sel:DWORD src1_sel:WORD_1
	v_fma_f16 v14, v14, v39, -v51
	s_waitcnt vmcnt(0)
	v_mul_f16_sdwa v51, v0, v45 dst_sel:DWORD dst_unused:UNUSED_PAD src0_sel:DWORD src1_sel:WORD_1
	v_mul_f16_sdwa v57, v4, v45 dst_sel:DWORD dst_unused:UNUSED_PAD src0_sel:DWORD src1_sel:WORD_1
	v_fmac_f16_e32 v58, v27, v37
	v_mul_f16_sdwa v27, v31, v46 dst_sel:DWORD dst_unused:UNUSED_PAD src0_sel:DWORD src1_sel:WORD_1
	v_fmac_f16_e32 v60, v29, v38
	;; [unrolled: 2-line block ×4, first 2 shown]
	v_mul_f16_sdwa v25, v16, v47 dst_sel:DWORD dst_unused:UNUSED_PAD src0_sel:DWORD src1_sel:WORD_1
	v_fma_f16 v13, v13, v38, -v59
	v_fma_f16 v9, v9, v40, -v21
	;; [unrolled: 1-line block ×3, first 2 shown]
	v_fmac_f16_e32 v26, v28, v41
	v_fma_f16 v5, v5, v42, -v33
	v_fmac_f16_e32 v34, v23, v42
	v_fma_f16 v6, v6, v43, -v35
	v_fmac_f16_e32 v36, v20, v43
	v_fma_f16 v3, v3, v44, -v49
	v_fmac_f16_e32 v55, v19, v44
	v_fma_f16 v4, v4, v45, -v51
	v_fmac_f16_e32 v57, v0, v45
	v_fma_f16 v0, v15, v46, -v27
	v_fmac_f16_e32 v29, v31, v46
	v_fma_f16 v15, v16, v47, -v30
	v_fmac_f16_e32 v25, v32, v47
	v_sub_f16_e32 v9, v1, v9
	v_sub_f16_e32 v16, v48, v22
	;; [unrolled: 1-line block ×16, first 2 shown]
	v_fma_f16 v1, v1, 2.0, -v9
	v_fma_f16 v11, v11, 2.0, -v3
	v_fma_f16 v27, v56, 2.0, -v19
	v_fma_f16 v7, v7, 2.0, -v5
	v_fma_f16 v28, v52, 2.0, -v20
	v_fma_f16 v13, v13, 2.0, -v0
	v_fma_f16 v29, v60, 2.0, -v21
	v_fma_f16 v2, v2, 2.0, -v10
	v_fma_f16 v12, v12, 2.0, -v4
	v_fma_f16 v31, v58, 2.0, -v23
	v_fma_f16 v8, v8, 2.0, -v6
	v_fma_f16 v14, v14, 2.0, -v15
	v_fma_f16 v33, v53, 2.0, -v25
	v_sub_f16_e32 v19, v9, v19
	v_add_f16_e32 v3, v16, v3
	v_sub_f16_e32 v21, v5, v21
	v_add_f16_e32 v0, v20, v0
	;; [unrolled: 2-line block ×4, first 2 shown]
	v_fma_f16 v26, v48, 2.0, -v16
	v_fma_f16 v30, v50, 2.0, -v22
	;; [unrolled: 1-line block ×3, first 2 shown]
	v_sub_f16_e32 v11, v1, v11
	v_fma_f16 v9, v9, 2.0, -v19
	v_fma_f16 v16, v16, 2.0, -v3
	v_sub_f16_e32 v13, v7, v13
	v_sub_f16_e32 v29, v28, v29
	v_fma_f16 v5, v5, 2.0, -v21
	v_fma_f16 v20, v20, 2.0, -v0
	v_sub_f16_e32 v12, v2, v12
	v_fma_f16 v10, v10, 2.0, -v23
	v_fma_f16 v22, v22, 2.0, -v4
	;; [unrolled: 3-line block ×3, first 2 shown]
	v_fmamk_f16 v35, v0, 0x39a8, v3
	v_sub_f16_e32 v27, v26, v27
	v_sub_f16_e32 v31, v30, v31
	;; [unrolled: 1-line block ×3, first 2 shown]
	v_fmamk_f16 v34, v21, 0x39a8, v19
	v_fmamk_f16 v36, v25, 0x39a8, v23
	;; [unrolled: 1-line block ×3, first 2 shown]
	v_fma_f16 v38, v1, 2.0, -v11
	v_fma_f16 v1, v7, 2.0, -v13
	;; [unrolled: 1-line block ×5, first 2 shown]
	v_fmamk_f16 v39, v5, 0xb9a8, v9
	v_fmamk_f16 v40, v20, 0xb9a8, v16
	v_fmac_f16_e32 v35, 0x39a8, v21
	v_fmamk_f16 v21, v6, 0xb9a8, v10
	v_fmamk_f16 v41, v24, 0xb9a8, v22
	v_fma_f16 v26, v26, 2.0, -v27
	v_fma_f16 v30, v30, 2.0, -v31
	;; [unrolled: 1-line block ×3, first 2 shown]
	v_sub_f16_e32 v29, v11, v29
	v_add_f16_e32 v32, v27, v13
	v_fmac_f16_e32 v34, 0xb9a8, v0
	v_sub_f16_e32 v13, v12, v33
	v_add_f16_e32 v14, v31, v14
	v_fmac_f16_e32 v36, 0xb9a8, v15
	v_fmac_f16_e32 v37, 0x39a8, v25
	v_sub_f16_e32 v25, v38, v1
	v_fmac_f16_e32 v39, 0xb9a8, v20
	v_fmac_f16_e32 v40, 0x39a8, v5
	v_sub_f16_e32 v5, v28, v2
	;; [unrolled: 3-line block ×3, first 2 shown]
	v_fma_f16 v42, v11, 2.0, -v29
	v_fma_f16 v27, v27, 2.0, -v32
	v_fma_f16 v19, v19, 2.0, -v34
	v_fma_f16 v43, v3, 2.0, -v35
	v_sub_f16_e32 v7, v30, v8
	v_fma_f16 v20, v12, 2.0, -v13
	v_fma_f16 v24, v31, 2.0, -v14
	;; [unrolled: 1-line block ×4, first 2 shown]
	v_fmamk_f16 v0, v13, 0x39a8, v29
	v_fmamk_f16 v1, v14, 0x39a8, v32
	v_fma_f16 v38, v38, 2.0, -v25
	v_fma_f16 v44, v9, 2.0, -v39
	;; [unrolled: 1-line block ×6, first 2 shown]
	v_fmamk_f16 v2, v36, 0x3b64, v34
	v_fmamk_f16 v3, v37, 0x3b64, v35
	v_fma_f16 v26, v26, 2.0, -v33
	v_fma_f16 v15, v30, 2.0, -v7
	v_fmamk_f16 v10, v20, 0xb9a8, v42
	v_fmamk_f16 v11, v24, 0xb9a8, v27
	;; [unrolled: 1-line block ×4, first 2 shown]
	v_sub_f16_e32 v6, v25, v7
	v_add_f16_e32 v7, v33, v5
	v_fmamk_f16 v4, v21, 0x361f, v39
	v_fmamk_f16 v5, v41, 0x361f, v40
	v_fmac_f16_e32 v0, 0xb9a8, v14
	v_fmac_f16_e32 v1, 0x39a8, v13
	v_sub_f16_e32 v14, v38, v12
	v_fmamk_f16 v12, v28, 0xbb64, v44
	v_fmamk_f16 v13, v22, 0xbb64, v45
	v_fmac_f16_e32 v2, 0xb61f, v37
	v_fmac_f16_e32 v3, 0x361f, v36
	v_sub_f16_e32 v15, v26, v15
	v_fmac_f16_e32 v10, 0xb9a8, v24
	v_fmac_f16_e32 v11, 0x39a8, v20
	;; [unrolled: 1-line block ×8, first 2 shown]
	v_fma_f16 v24, v25, 2.0, -v6
	v_fma_f16 v25, v33, 2.0, -v7
	;; [unrolled: 1-line block ×16, first 2 shown]
	s_and_saveexec_b32 s4, s5
	s_cbranch_execz .LBB0_18
; %bb.17:
	v_mad_u64_u32 v[34:35], null, s10, v18, 0
	v_mad_u64_u32 v[36:37], null, s8, v17, 0
	v_add_nc_u32_e32 v44, 13, v17
	s_lshl_b64 s[14:15], s[2:3], 2
	v_add_nc_u32_e32 v45, 26, v17
	s_add_u32 s5, s12, s14
	v_add_nc_u32_e32 v46, 39, v17
	v_mad_u64_u32 v[38:39], null, s8, v44, 0
	v_mad_u64_u32 v[40:41], null, s11, v18, v[35:36]
	s_addc_u32 s7, s13, s15
	v_perm_b32 v47, v27, v26, 0x5040100
	v_add_nc_u32_e32 v49, 0xb6, v17
	v_add_nc_u32_e32 v53, 0xc3, v17
	v_mad_u64_u32 v[41:42], null, s9, v17, v[37:38]
	v_mov_b32_e32 v37, v39
	v_mov_b32_e32 v35, v40
	v_mad_u64_u32 v[42:43], null, s8, v45, 0
	v_perm_b32 v52, v9, v8, 0x5040100
	v_mad_u64_u32 v[39:40], null, s9, v44, v[37:38]
	v_mov_b32_e32 v37, v41
	v_lshlrev_b64 v[34:35], 2, v[34:35]
	v_mad_u64_u32 v[40:41], null, s8, v46, 0
	v_perm_b32 v44, v33, v32, 0x5040100
	v_lshlrev_b64 v[36:37], 2, v[36:37]
	v_add_co_u32 v50, vcc_lo, s5, v34
	v_add_co_ci_u32_e32 v51, vcc_lo, s7, v35, vcc_lo
	v_add_co_u32 v34, vcc_lo, v50, v36
	v_add_co_ci_u32_e32 v35, vcc_lo, v51, v37, vcc_lo
	v_lshlrev_b64 v[36:37], 2, v[38:39]
	v_mad_u64_u32 v[38:39], null, s9, v45, v[43:44]
	global_store_dword v[34:35], v44, off
	v_mov_b32_e32 v34, v41
	v_add_nc_u32_e32 v44, 52, v17
	v_add_co_u32 v35, vcc_lo, v50, v36
	v_add_co_ci_u32_e32 v36, vcc_lo, v51, v37, vcc_lo
	v_mov_b32_e32 v43, v38
	v_mad_u64_u32 v[37:38], null, s9, v46, v[34:35]
	v_perm_b32 v34, v31, v30, 0x5040100
	v_add_nc_u32_e32 v46, 0x41, v17
	v_lshlrev_b64 v[38:39], 2, v[42:43]
	v_mad_u64_u32 v[42:43], null, s8, v44, 0
	global_store_dword v[35:36], v34, off
	v_mov_b32_e32 v41, v37
	v_perm_b32 v45, v29, v28, 0x5040100
	v_add_co_u32 v34, vcc_lo, v50, v38
	v_add_co_ci_u32_e32 v35, vcc_lo, v51, v39, vcc_lo
	v_lshlrev_b64 v[37:38], 2, v[40:41]
	v_mov_b32_e32 v36, v43
	global_store_dword v[34:35], v45, off
                                        ; kill: def $vgpr35 killed $sgpr0 killed $exec
	v_add_nc_u32_e32 v45, 0x5b, v17
	v_mad_u64_u32 v[39:40], null, s9, v44, v[36:37]
	v_mad_u64_u32 v[40:41], null, s8, v46, 0
	v_add_nc_u32_e32 v44, 0x4e, v17
	v_add_co_u32 v36, vcc_lo, v50, v37
	v_add_co_ci_u32_e32 v37, vcc_lo, v51, v38, vcc_lo
	v_mov_b32_e32 v43, v39
	v_mad_u64_u32 v[38:39], null, s8, v44, 0
	v_mov_b32_e32 v34, v41
	global_store_dword v[36:37], v47, off
	v_lshlrev_b64 v[41:42], 2, v[42:43]
	v_add_nc_u32_e32 v47, 0x8f, v17
	v_mad_u64_u32 v[34:35], null, s9, v46, v[34:35]
	v_mov_b32_e32 v35, v39
	v_add_co_u32 v36, vcc_lo, v50, v41
	v_add_co_ci_u32_e32 v37, vcc_lo, v51, v42, vcc_lo
	v_perm_b32 v39, v25, v24, 0x5040100
	v_mad_u64_u32 v[42:43], null, s9, v44, v[35:36]
	v_mov_b32_e32 v41, v34
	v_mad_u64_u32 v[43:44], null, s8, v45, 0
	v_add_nc_u32_e32 v46, 0x68, v17
	global_store_dword v[36:37], v39, off
	v_lshlrev_b64 v[34:35], 2, v[40:41]
	v_mov_b32_e32 v39, v42
	v_mad_u64_u32 v[40:41], null, s8, v46, 0
	v_mov_b32_e32 v36, v44
	v_lshlrev_b64 v[37:38], 2, v[38:39]
	v_add_co_u32 v34, vcc_lo, v50, v34
	v_add_co_ci_u32_e32 v35, vcc_lo, v51, v35, vcc_lo
	v_perm_b32 v39, v23, v22, 0x5040100
	v_mad_u64_u32 v[44:45], null, s9, v45, v[36:37]
	v_mov_b32_e32 v36, v41
	v_add_co_u32 v37, vcc_lo, v50, v37
	v_add_co_ci_u32_e32 v38, vcc_lo, v51, v38, vcc_lo
	v_perm_b32 v45, v21, v20, 0x5040100
	v_mad_u64_u32 v[41:42], null, s9, v46, v[36:37]
	v_add_nc_u32_e32 v42, 0x75, v17
	global_store_dword v[34:35], v39, off
	global_store_dword v[37:38], v45, off
	v_lshlrev_b64 v[34:35], 2, v[43:44]
	v_add_nc_u32_e32 v44, 0x82, v17
	v_mad_u64_u32 v[36:37], null, s8, v42, 0
	v_lshlrev_b64 v[38:39], 2, v[40:41]
	v_perm_b32 v45, v19, v16, 0x5040100
	v_mad_u64_u32 v[40:41], null, s8, v44, 0
	v_add_co_u32 v34, vcc_lo, v50, v34
	v_mad_u64_u32 v[42:43], null, s9, v42, v[37:38]
	v_add_co_ci_u32_e32 v35, vcc_lo, v51, v35, vcc_lo
	v_add_co_u32 v38, vcc_lo, v50, v38
	v_add_co_ci_u32_e32 v39, vcc_lo, v51, v39, vcc_lo
	v_mov_b32_e32 v37, v42
	v_mad_u64_u32 v[41:42], null, s9, v44, v[41:42]
	v_mad_u64_u32 v[42:43], null, s8, v47, 0
	v_perm_b32 v46, v15, v14, 0x5040100
	global_store_dword v[34:35], v45, off
	v_lshlrev_b64 v[34:35], 2, v[36:37]
	v_add_nc_u32_e32 v45, 0x9c, v17
	v_perm_b32 v44, v13, v12, 0x5040100
	global_store_dword v[38:39], v46, off
	v_lshlrev_b64 v[37:38], 2, v[40:41]
	v_mov_b32_e32 v36, v43
	v_add_co_u32 v34, vcc_lo, v50, v34
	v_add_co_ci_u32_e32 v35, vcc_lo, v51, v35, vcc_lo
	v_mad_u64_u32 v[39:40], null, s9, v47, v[36:37]
	v_add_co_u32 v36, vcc_lo, v50, v37
	v_mad_u64_u32 v[40:41], null, s8, v45, 0
	v_add_co_ci_u32_e32 v37, vcc_lo, v51, v38, vcc_lo
	v_mov_b32_e32 v43, v39
	v_add_nc_u32_e32 v39, 0xa9, v17
	v_perm_b32 v38, v11, v10, 0x5040100
	global_store_dword v[34:35], v44, off
	global_store_dword v[36:37], v38, off
	v_mad_u64_u32 v[37:38], null, s8, v39, 0
	v_mov_b32_e32 v36, v41
	v_lshlrev_b64 v[34:35], 2, v[42:43]
	v_mad_u64_u32 v[42:43], null, s8, v49, 0
	v_mad_u64_u32 v[44:45], null, s9, v45, v[36:37]
	v_add_co_u32 v34, vcc_lo, v50, v34
	v_mad_u64_u32 v[45:46], null, s8, v53, 0
	v_add_co_ci_u32_e32 v35, vcc_lo, v51, v35, vcc_lo
	v_mov_b32_e32 v36, v38
	v_mov_b32_e32 v41, v44
	;; [unrolled: 1-line block ×3, first 2 shown]
	global_store_dword v[34:35], v52, off
	v_mov_b32_e32 v34, v46
	v_mad_u64_u32 v[47:48], null, s9, v39, v[36:37]
	v_lshlrev_b64 v[35:36], 2, v[40:41]
	v_mad_u64_u32 v[48:49], null, s9, v49, v[38:39]
	v_perm_b32 v44, v7, v6, 0x5040100
	v_mad_u64_u32 v[39:40], null, s9, v53, v[34:35]
	v_mov_b32_e32 v38, v47
	v_mov_b32_e32 v43, v48
	v_add_co_u32 v34, vcc_lo, v50, v35
	v_add_co_ci_u32_e32 v35, vcc_lo, v51, v36, vcc_lo
	v_lshlrev_b64 v[36:37], 2, v[37:38]
	v_mov_b32_e32 v46, v39
	v_lshlrev_b64 v[40:41], 2, v[42:43]
	v_perm_b32 v42, v5, v4, 0x5040100
	v_perm_b32 v43, v1, v0, 0x5040100
	v_add_co_u32 v36, vcc_lo, v50, v36
	v_lshlrev_b64 v[38:39], 2, v[45:46]
	v_add_co_ci_u32_e32 v37, vcc_lo, v51, v37, vcc_lo
	v_add_co_u32 v40, vcc_lo, v50, v40
	v_add_co_ci_u32_e32 v41, vcc_lo, v51, v41, vcc_lo
	v_add_co_u32 v38, vcc_lo, v50, v38
	v_add_co_ci_u32_e32 v39, vcc_lo, v51, v39, vcc_lo
	v_perm_b32 v45, v3, v2, 0x5040100
	global_store_dword v[34:35], v44, off
	global_store_dword v[36:37], v42, off
	;; [unrolled: 1-line block ×4, first 2 shown]
.LBB0_18:
	s_or_b32 exec_lo, exec_lo, s4
	s_andn2_b32 vcc_lo, exec_lo, s6
	s_cbranch_vccnz .LBB0_21
; %bb.19:
	s_and_b32 s0, s1, s0
	s_and_saveexec_b32 s1, s0
	s_cbranch_execz .LBB0_21
; %bb.20:
	v_mad_u64_u32 v[34:35], null, s10, v18, 0
	v_mad_u64_u32 v[36:37], null, s8, v17, 0
	v_add_nc_u32_e32 v44, 13, v17
	v_add_nc_u32_e32 v45, 26, v17
	s_lshl_b64 s[0:1], s[2:3], 2
	v_add_nc_u32_e32 v46, 39, v17
	s_add_u32 s0, s12, s0
	v_mad_u64_u32 v[38:39], null, s8, v44, 0
	v_mad_u64_u32 v[40:41], null, s11, v18, v[35:36]
	s_addc_u32 s1, s13, s1
	v_perm_b32 v2, v3, v2, 0x5040100
	v_mad_u64_u32 v[41:42], null, s9, v17, v[37:38]
	v_mov_b32_e32 v35, v40
	v_mad_u64_u32 v[42:43], null, s8, v45, 0
	v_mov_b32_e32 v18, v39
	v_lshlrev_b64 v[34:35], 2, v[34:35]
	v_mov_b32_e32 v37, v41
	v_mad_u64_u32 v[39:40], null, s9, v44, v[18:19]
	v_mad_u64_u32 v[40:41], null, s8, v46, 0
	v_lshlrev_b64 v[36:37], 2, v[36:37]
	v_add_co_u32 v44, vcc_lo, s0, v34
	v_mov_b32_e32 v18, v43
	v_add_co_ci_u32_e32 v47, vcc_lo, s1, v35, vcc_lo
	v_add_co_u32 v34, vcc_lo, v44, v36
	v_perm_b32 v43, v33, v32, 0x5040100
	v_add_co_ci_u32_e32 v35, vcc_lo, v47, v37, vcc_lo
	v_mad_u64_u32 v[36:37], null, s9, v45, v[18:19]
	v_mov_b32_e32 v18, v41
	v_lshlrev_b64 v[32:33], 2, v[38:39]
	v_add_nc_u32_e32 v37, 52, v17
	global_store_dword v[34:35], v43, off
	v_add_nc_u32_e32 v39, 0x41, v17
	v_mad_u64_u32 v[34:35], null, s9, v46, v[18:19]
	v_mov_b32_e32 v43, v36
	v_mad_u64_u32 v[35:36], null, s8, v37, 0
	v_add_co_u32 v32, vcc_lo, v44, v32
	v_add_co_ci_u32_e32 v33, vcc_lo, v47, v33, vcc_lo
	v_perm_b32 v18, v31, v30, 0x5040100
	v_lshlrev_b64 v[30:31], 2, v[42:43]
	v_mov_b32_e32 v41, v34
	v_perm_b32 v38, v29, v28, 0x5040100
	global_store_dword v[32:33], v18, off
	v_mov_b32_e32 v18, v36
	v_lshlrev_b64 v[28:29], 2, v[40:41]
	v_add_co_u32 v30, vcc_lo, v44, v30
	v_add_co_ci_u32_e32 v31, vcc_lo, v47, v31, vcc_lo
	v_mad_u64_u32 v[32:33], null, s9, v37, v[18:19]
	v_mad_u64_u32 v[33:34], null, s8, v39, 0
	v_add_nc_u32_e32 v37, 0x4e, v17
	v_perm_b32 v40, v27, v26, 0x5040100
	v_add_co_u32 v28, vcc_lo, v44, v28
	v_mov_b32_e32 v36, v32
	v_mad_u64_u32 v[26:27], null, s8, v37, 0
	v_add_co_ci_u32_e32 v29, vcc_lo, v47, v29, vcc_lo
	global_store_dword v[30:31], v38, off
	v_mov_b32_e32 v18, v34
	v_lshlrev_b64 v[30:31], 2, v[35:36]
	global_store_dword v[28:29], v40, off
	v_add_nc_u32_e32 v35, 0x5b, v17
	v_mad_u64_u32 v[28:29], null, s9, v39, v[18:19]
	v_mov_b32_e32 v18, v27
	v_add_co_u32 v29, vcc_lo, v44, v30
	v_add_co_ci_u32_e32 v30, vcc_lo, v47, v31, vcc_lo
	v_perm_b32 v27, v25, v24, 0x5040100
	v_mad_u64_u32 v[24:25], null, s9, v37, v[18:19]
	v_mad_u64_u32 v[31:32], null, s8, v35, 0
	global_store_dword v[29:30], v27, off
	v_add_nc_u32_e32 v30, 0x68, v17
	v_mov_b32_e32 v34, v28
	v_mov_b32_e32 v27, v24
	v_mad_u64_u32 v[24:25], null, s8, v30, 0
	v_lshlrev_b64 v[28:29], 2, v[33:34]
	v_mov_b32_e32 v18, v32
	v_lshlrev_b64 v[26:27], 2, v[26:27]
	v_add_co_u32 v28, vcc_lo, v44, v28
	v_mad_u64_u32 v[32:33], null, s9, v35, v[18:19]
	v_mov_b32_e32 v18, v25
	v_add_co_ci_u32_e32 v29, vcc_lo, v47, v29, vcc_lo
	v_perm_b32 v33, v23, v22, 0x5040100
	v_add_co_u32 v22, vcc_lo, v44, v26
	v_add_co_ci_u32_e32 v23, vcc_lo, v47, v27, vcc_lo
	v_perm_b32 v25, v21, v20, 0x5040100
	v_mad_u64_u32 v[20:21], null, s9, v30, v[18:19]
	global_store_dword v[28:29], v33, off
	v_add_nc_u32_e32 v28, 0x75, v17
	global_store_dword v[22:23], v25, off
	v_lshlrev_b64 v[21:22], 2, v[31:32]
	v_add_nc_u32_e32 v29, 0x82, v17
	v_perm_b32 v30, v19, v16, 0x5040100
	v_mov_b32_e32 v25, v20
	v_mad_u64_u32 v[26:27], null, s8, v28, 0
	v_add_co_u32 v20, vcc_lo, v44, v21
	v_add_co_ci_u32_e32 v21, vcc_lo, v47, v22, vcc_lo
	v_lshlrev_b64 v[22:23], 2, v[24:25]
	v_mad_u64_u32 v[24:25], null, s8, v29, 0
	v_mov_b32_e32 v18, v27
	global_store_dword v[20:21], v30, off
	v_add_co_u32 v22, vcc_lo, v44, v22
	v_mad_u64_u32 v[18:19], null, s9, v28, v[18:19]
	v_mov_b32_e32 v16, v25
	v_add_nc_u32_e32 v28, 0x8f, v17
	v_perm_b32 v25, v15, v14, 0x5040100
	v_add_co_ci_u32_e32 v23, vcc_lo, v47, v23, vcc_lo
	v_mad_u64_u32 v[14:15], null, s9, v29, v[16:17]
	v_mad_u64_u32 v[15:16], null, s8, v28, 0
	v_mov_b32_e32 v27, v18
	global_store_dword v[22:23], v25, off
	v_perm_b32 v22, v13, v12, 0x5040100
	v_add_nc_u32_e32 v23, 0x9c, v17
	v_mov_b32_e32 v25, v14
	v_lshlrev_b64 v[18:19], 2, v[26:27]
	v_mov_b32_e32 v14, v16
	v_lshlrev_b64 v[20:21], 2, v[24:25]
	v_add_nc_u32_e32 v24, 0xc3, v17
	v_mad_u64_u32 v[12:13], null, s9, v28, v[14:15]
	v_add_co_u32 v18, vcc_lo, v44, v18
	v_add_co_ci_u32_e32 v19, vcc_lo, v47, v19, vcc_lo
	v_add_co_u32 v13, vcc_lo, v44, v20
	v_mov_b32_e32 v16, v12
	v_add_co_ci_u32_e32 v14, vcc_lo, v47, v21, vcc_lo
	v_perm_b32 v20, v11, v10, 0x5040100
	global_store_dword v[18:19], v22, off
	global_store_dword v[13:14], v20, off
	v_add_nc_u32_e32 v20, 0xa9, v17
	v_lshlrev_b64 v[12:13], 2, v[15:16]
	v_add_nc_u32_e32 v21, 0xb6, v17
	v_mad_u64_u32 v[10:11], null, s8, v23, 0
	v_mad_u64_u32 v[14:15], null, s8, v20, 0
	v_mad_u64_u32 v[18:19], null, s8, v21, 0
	v_add_co_u32 v12, vcc_lo, v44, v12
	v_perm_b32 v22, v9, v8, 0x5040100
	v_mad_u64_u32 v[16:17], null, s8, v24, 0
	v_mad_u64_u32 v[8:9], null, s9, v23, v[11:12]
	v_mov_b32_e32 v9, v15
	v_mov_b32_e32 v11, v19
	v_add_co_ci_u32_e32 v13, vcc_lo, v47, v13, vcc_lo
	v_mad_u64_u32 v[19:20], null, s9, v20, v[9:10]
	v_mad_u64_u32 v[20:21], null, s9, v21, v[11:12]
	v_mov_b32_e32 v11, v8
	v_mov_b32_e32 v8, v17
	global_store_dword v[12:13], v22, off
	v_mov_b32_e32 v15, v19
	v_lshlrev_b64 v[9:10], 2, v[10:11]
	v_mov_b32_e32 v19, v20
	v_mad_u64_u32 v[11:12], null, s9, v24, v[8:9]
	v_lshlrev_b64 v[12:13], 2, v[14:15]
	v_add_co_u32 v8, vcc_lo, v44, v9
	v_perm_b32 v14, v7, v6, 0x5040100
	v_lshlrev_b64 v[6:7], 2, v[18:19]
	v_add_co_ci_u32_e32 v9, vcc_lo, v47, v10, vcc_lo
	v_mov_b32_e32 v17, v11
	v_add_co_u32 v10, vcc_lo, v44, v12
	v_perm_b32 v12, v5, v4, 0x5040100
	v_add_co_ci_u32_e32 v11, vcc_lo, v47, v13, vcc_lo
	v_lshlrev_b64 v[4:5], 2, v[16:17]
	v_add_co_u32 v6, vcc_lo, v44, v6
	v_add_co_ci_u32_e32 v7, vcc_lo, v47, v7, vcc_lo
	v_perm_b32 v13, v1, v0, 0x5040100
	v_add_co_u32 v0, vcc_lo, v44, v4
	v_add_co_ci_u32_e32 v1, vcc_lo, v47, v5, vcc_lo
	global_store_dword v[8:9], v14, off
	global_store_dword v[10:11], v12, off
	;; [unrolled: 1-line block ×4, first 2 shown]
.LBB0_21:
	s_endpgm
	.section	.rodata,"a",@progbits
	.p2align	6, 0x0
	.amdhsa_kernel fft_rtc_fwd_len208_factors_13_16_wgs_144_tpt_16_half_ip_CI_sbcc_dirReg
		.amdhsa_group_segment_fixed_size 0
		.amdhsa_private_segment_fixed_size 0
		.amdhsa_kernarg_size 96
		.amdhsa_user_sgpr_count 6
		.amdhsa_user_sgpr_private_segment_buffer 1
		.amdhsa_user_sgpr_dispatch_ptr 0
		.amdhsa_user_sgpr_queue_ptr 0
		.amdhsa_user_sgpr_kernarg_segment_ptr 1
		.amdhsa_user_sgpr_dispatch_id 0
		.amdhsa_user_sgpr_flat_scratch_init 0
		.amdhsa_user_sgpr_private_segment_size 0
		.amdhsa_wavefront_size32 1
		.amdhsa_uses_dynamic_stack 0
		.amdhsa_system_sgpr_private_segment_wavefront_offset 0
		.amdhsa_system_sgpr_workgroup_id_x 1
		.amdhsa_system_sgpr_workgroup_id_y 0
		.amdhsa_system_sgpr_workgroup_id_z 0
		.amdhsa_system_sgpr_workgroup_info 0
		.amdhsa_system_vgpr_workitem_id 0
		.amdhsa_next_free_vgpr 61
		.amdhsa_next_free_sgpr 44
		.amdhsa_reserve_vcc 1
		.amdhsa_reserve_flat_scratch 0
		.amdhsa_float_round_mode_32 0
		.amdhsa_float_round_mode_16_64 0
		.amdhsa_float_denorm_mode_32 3
		.amdhsa_float_denorm_mode_16_64 3
		.amdhsa_dx10_clamp 1
		.amdhsa_ieee_mode 1
		.amdhsa_fp16_overflow 0
		.amdhsa_workgroup_processor_mode 1
		.amdhsa_memory_ordered 1
		.amdhsa_forward_progress 0
		.amdhsa_shared_vgpr_count 0
		.amdhsa_exception_fp_ieee_invalid_op 0
		.amdhsa_exception_fp_denorm_src 0
		.amdhsa_exception_fp_ieee_div_zero 0
		.amdhsa_exception_fp_ieee_overflow 0
		.amdhsa_exception_fp_ieee_underflow 0
		.amdhsa_exception_fp_ieee_inexact 0
		.amdhsa_exception_int_div_zero 0
	.end_amdhsa_kernel
	.text
.Lfunc_end0:
	.size	fft_rtc_fwd_len208_factors_13_16_wgs_144_tpt_16_half_ip_CI_sbcc_dirReg, .Lfunc_end0-fft_rtc_fwd_len208_factors_13_16_wgs_144_tpt_16_half_ip_CI_sbcc_dirReg
                                        ; -- End function
	.section	.AMDGPU.csdata,"",@progbits
; Kernel info:
; codeLenInByte = 9476
; NumSgprs: 46
; NumVgprs: 61
; ScratchSize: 0
; MemoryBound: 0
; FloatMode: 240
; IeeeMode: 1
; LDSByteSize: 0 bytes/workgroup (compile time only)
; SGPRBlocks: 5
; VGPRBlocks: 7
; NumSGPRsForWavesPerEU: 46
; NumVGPRsForWavesPerEU: 61
; Occupancy: 15
; WaveLimiterHint : 1
; COMPUTE_PGM_RSRC2:SCRATCH_EN: 0
; COMPUTE_PGM_RSRC2:USER_SGPR: 6
; COMPUTE_PGM_RSRC2:TRAP_HANDLER: 0
; COMPUTE_PGM_RSRC2:TGID_X_EN: 1
; COMPUTE_PGM_RSRC2:TGID_Y_EN: 0
; COMPUTE_PGM_RSRC2:TGID_Z_EN: 0
; COMPUTE_PGM_RSRC2:TIDIG_COMP_CNT: 0
	.text
	.p2alignl 6, 3214868480
	.fill 48, 4, 3214868480
	.type	__hip_cuid_bafaf365f667e732,@object ; @__hip_cuid_bafaf365f667e732
	.section	.bss,"aw",@nobits
	.globl	__hip_cuid_bafaf365f667e732
__hip_cuid_bafaf365f667e732:
	.byte	0                               ; 0x0
	.size	__hip_cuid_bafaf365f667e732, 1

	.ident	"AMD clang version 19.0.0git (https://github.com/RadeonOpenCompute/llvm-project roc-6.4.0 25133 c7fe45cf4b819c5991fe208aaa96edf142730f1d)"
	.section	".note.GNU-stack","",@progbits
	.addrsig
	.addrsig_sym __hip_cuid_bafaf365f667e732
	.amdgpu_metadata
---
amdhsa.kernels:
  - .args:
      - .actual_access:  read_only
        .address_space:  global
        .offset:         0
        .size:           8
        .value_kind:     global_buffer
      - .address_space:  global
        .offset:         8
        .size:           8
        .value_kind:     global_buffer
      - .offset:         16
        .size:           8
        .value_kind:     by_value
      - .actual_access:  read_only
        .address_space:  global
        .offset:         24
        .size:           8
        .value_kind:     global_buffer
      - .actual_access:  read_only
        .address_space:  global
        .offset:         32
        .size:           8
        .value_kind:     global_buffer
      - .offset:         40
        .size:           8
        .value_kind:     by_value
      - .actual_access:  read_only
        .address_space:  global
        .offset:         48
        .size:           8
        .value_kind:     global_buffer
      - .actual_access:  read_only
        .address_space:  global
        .offset:         56
        .size:           8
        .value_kind:     global_buffer
      - .offset:         64
        .size:           4
        .value_kind:     by_value
      - .actual_access:  read_only
        .address_space:  global
        .offset:         72
        .size:           8
        .value_kind:     global_buffer
      - .actual_access:  read_only
        .address_space:  global
        .offset:         80
        .size:           8
        .value_kind:     global_buffer
      - .address_space:  global
        .offset:         88
        .size:           8
        .value_kind:     global_buffer
    .group_segment_fixed_size: 0
    .kernarg_segment_align: 8
    .kernarg_segment_size: 96
    .language:       OpenCL C
    .language_version:
      - 2
      - 0
    .max_flat_workgroup_size: 144
    .name:           fft_rtc_fwd_len208_factors_13_16_wgs_144_tpt_16_half_ip_CI_sbcc_dirReg
    .private_segment_fixed_size: 0
    .sgpr_count:     46
    .sgpr_spill_count: 0
    .symbol:         fft_rtc_fwd_len208_factors_13_16_wgs_144_tpt_16_half_ip_CI_sbcc_dirReg.kd
    .uniform_work_group_size: 1
    .uses_dynamic_stack: false
    .vgpr_count:     61
    .vgpr_spill_count: 0
    .wavefront_size: 32
    .workgroup_processor_mode: 1
amdhsa.target:   amdgcn-amd-amdhsa--gfx1030
amdhsa.version:
  - 1
  - 2
...

	.end_amdgpu_metadata
